;; amdgpu-corpus repo=zjin-lcf/HeCBench kind=compiled arch=gfx90a opt=O3
	.text
	.amdgcn_target "amdgcn-amd-amdhsa--gfx90a"
	.amdhsa_code_object_version 6
	.protected	_Z10insertionsPdPK13StructureAtomid ; -- Begin function _Z10insertionsPdPK13StructureAtomid
	.globl	_Z10insertionsPdPK13StructureAtomid
	.p2align	8
	.type	_Z10insertionsPdPK13StructureAtomid,@function
_Z10insertionsPdPK13StructureAtomid:    ; @_Z10insertionsPdPK13StructureAtomid
; %bb.0:
	s_load_dword s33, s[4:5], 0x10
	s_load_dwordx2 s[8:9], s[4:5], 0x0
	v_lshl_add_u32 v0, s6, 8, v0
	v_ashrrev_i32_e32 v1, 31, v0
	s_waitcnt lgkmcnt(0)
	s_cmp_lt_i32 s33, 1
	s_cbranch_scc1 .LBB0_3
; %bb.1:
	s_load_dwordx2 s[0:1], s[4:5], 0x8
	s_load_dwordx2 s[10:11], s[4:5], 0x18
	s_mov_b32 s4, 0xe48e2825
	s_mov_b32 s5, 0x26f19d38
	v_mad_u64_u32 v[4:5], s[2:3], v0, s4, 1
	v_mul_lo_u32 v2, v0, s5
	v_mul_lo_u32 v3, v1, s4
	v_add3_u32 v5, v3, v5, v2
	v_and_b32_e32 v2, 0x7fffffff, v5
	v_cvt_f64_u32_e32 v[2:3], v2
	v_ldexp_f64 v[2:3], v[2:3], 32
	v_cvt_f64_u32_e32 v[6:7], v4
	v_add_f64 v[2:3], v[2:3], v[6:7]
	v_mad_u64_u32 v[8:9], s[2:3], v4, s4, 0
	v_mul_lo_u32 v6, v4, s5
	v_mul_lo_u32 v7, v5, s4
	v_mad_u64_u32 v[4:5], s[2:3], v4, s4, 1
	v_add3_u32 v5, v7, v5, v6
	v_and_b32_e32 v5, 0x7fffffff, v5
	v_add3_u32 v9, v9, v6, v7
	v_cvt_f64_u32_e32 v[6:7], v5
	v_ldexp_f64 v[6:7], v[6:7], 32
	v_cvt_f64_u32_e32 v[4:5], v4
	s_movk_i32 s6, 0xffc1
	v_add_f64 v[4:5], v[6:7], v[4:5]
	v_ldexp_f64 v[4:5], v[4:5], s6
	s_waitcnt lgkmcnt(0)
	v_mul_f64 v[6:7], v[4:5], s[10:11]
	v_mov_b32_e32 v4, 0xe48e2826
	v_mov_b32_e32 v5, 0x26f19d38
	v_mul_lo_u32 v9, v9, s4
	v_mul_lo_u32 v10, v8, s5
	v_mad_u64_u32 v[4:5], s[2:3], v8, s4, v[4:5]
	v_add3_u32 v5, v9, v5, v10
	v_and_b32_e32 v5, 0x7fffffff, v5
	v_cvt_f64_u32_e32 v[8:9], v5
	v_ldexp_f64 v[8:9], v[8:9], 32
	v_cvt_f64_u32_e32 v[4:5], v4
	v_add_f64 v[4:5], v[8:9], v[4:5]
	v_ldexp_f64 v[2:3], v[2:3], s6
	v_ldexp_f64 v[4:5], v[4:5], s6
	s_add_u32 s12, s0, 16
	s_mov_b32 s14, 0
	s_mov_b32 s16, 0x55555555
	;; [unrolled: 1-line block ×12, first 2 shown]
	v_mul_f64 v[2:3], v[2:3], s[10:11]
	v_mul_f64 v[8:9], v[4:5], s[10:11]
	v_mul_f64 v[10:11], s[10:11], 0.5
	s_addc_u32 s13, s1, 0
	s_mov_b32 s46, 0
	v_pk_mov_b32 v[4:5], 0, 0
	s_brev_b32 s15, 8
	v_mov_b32_e32 v12, 0
	v_mov_b32_e32 v64, 0xffffff80
	;; [unrolled: 1-line block ×3, first 2 shown]
	s_mov_b32 s17, 0x3fe55555
	v_mov_b32_e32 v66, 0x3ff00000
	v_mov_b32_e32 v14, 0x968915a9
	v_mov_b32_e32 v15, 0x3fba6564
	s_mov_b32 s19, 0x3fbdee67
	v_mov_b32_e32 v16, 0x3abe935a
	v_mov_b32_e32 v17, 0x3fbe25e4
	;; [unrolled: 1-line block ×14, first 2 shown]
	s_mov_b32 s21, 0x3fe62e42
	s_mov_b32 s23, 0x3c7abc9e
	;; [unrolled: 1-line block ×6, first 2 shown]
	s_movk_i32 s47, 0x204
	s_mov_b32 s31, 0x7ff00000
	s_mov_b32 s35, 0x3ff71547
	;; [unrolled: 1-line block ×9, first 2 shown]
	v_mov_b32_e32 v30, 0xfca7ab0c
	v_mov_b32_e32 v31, 0x3e928af3
	;; [unrolled: 1-line block ×19, first 2 shown]
.LBB0_2:                                ; =>This Inner Loop Header: Depth=1
	s_add_u32 s0, s12, -16
	s_addc_u32 s1, s13, -1
	s_load_dwordx8 s[0:7], s[0:1], 0x0
	s_add_i32 s46, s46, 1
	s_load_dwordx2 s[48:49], s[12:13], 0x10
	s_waitcnt lgkmcnt(0)
	v_add_f64 v[50:51], v[6:7], -s[2:3]
	v_add_f64 v[48:49], v[2:3], -s[0:1]
	;; [unrolled: 1-line block ×3, first 2 shown]
	v_cmp_gt_f64_e32 vcc, v[50:51], v[10:11]
	v_add_f64 v[52:53], v[8:9], -s[4:5]
	v_add_f64 v[54:55], v[48:49], -s[10:11]
	v_cmp_gt_f64_e64 s[2:3], v[48:49], v[10:11]
	v_cndmask_b32_e32 v51, v51, v57, vcc
	v_cndmask_b32_e32 v50, v50, v56, vcc
	v_add_f64 v[58:59], v[52:53], -s[10:11]
	v_cmp_le_f64_e64 s[0:1], v[52:53], -v[10:11]
	v_cndmask_b32_e64 v49, v49, v55, s[2:3]
	v_cndmask_b32_e64 v48, v48, v54, s[2:3]
	v_add_f64 v[56:57], v[50:51], -s[10:11]
	v_cmp_le_f64_e64 vcc, v[50:51], -v[10:11]
	v_cndmask_b32_e64 v53, v53, v59, s[0:1]
	v_cndmask_b32_e64 v52, v52, v58, s[0:1]
	v_add_f64 v[54:55], v[48:49], -s[10:11]
	v_cmp_gt_f64_e64 s[2:3], v[48:49], v[10:11]
	v_cndmask_b32_e32 v51, v51, v57, vcc
	v_cndmask_b32_e32 v50, v50, v56, vcc
	v_add_f64 v[58:59], v[52:53], -s[10:11]
	v_cmp_le_f64_e64 s[0:1], v[52:53], -v[10:11]
	v_cndmask_b32_e64 v49, v49, v55, s[2:3]
	v_cndmask_b32_e64 v48, v48, v54, s[2:3]
	v_mul_f64 v[50:51], v[50:51], v[50:51]
	v_cndmask_b32_e64 v53, v53, v59, s[0:1]
	v_cndmask_b32_e64 v52, v52, v58, s[0:1]
	v_fmac_f64_e32 v[50:51], v[48:49], v[48:49]
	v_fmac_f64_e32 v[50:51], v[52:53], v[52:53]
	v_cmp_gt_f64_e32 vcc, s[14:15], v[50:51]
	v_cndmask_b32_e64 v13, 0, 1, vcc
	v_lshlrev_b32_e32 v13, 8, v13
	v_ldexp_f64 v[48:49], v[50:51], v13
	v_rsq_f64_e32 v[50:51], v[48:49]
	v_cndmask_b32_e32 v56, 0, v64, vcc
	v_cmp_class_f64_e32 vcc, v[48:49], v65
	v_mul_f64 v[52:53], v[48:49], v[50:51]
	v_mul_f64 v[50:51], v[50:51], 0.5
	v_fma_f64 v[54:55], -v[50:51], v[52:53], 0.5
	v_fmac_f64_e32 v[52:53], v[52:53], v[54:55]
	v_fmac_f64_e32 v[50:51], v[50:51], v[54:55]
	v_fma_f64 v[54:55], -v[52:53], v[52:53], v[48:49]
	v_fmac_f64_e32 v[52:53], v[54:55], v[50:51]
	v_fma_f64 v[54:55], -v[52:53], v[52:53], v[48:49]
	v_fmac_f64_e32 v[52:53], v[54:55], v[50:51]
	v_ldexp_f64 v[50:51], v[52:53], v56
	v_cndmask_b32_e32 v49, v51, v49, vcc
	v_cndmask_b32_e32 v48, v50, v48, vcc
	v_div_scale_f64 v[50:51], s[0:1], v[48:49], v[48:49], 1.0
	v_rcp_f64_e32 v[54:55], v[50:51]
	v_div_scale_f64 v[52:53], vcc, 1.0, v[48:49], 1.0
	v_fma_f64 v[56:57], -v[50:51], v[54:55], 1.0
	v_fmac_f64_e32 v[54:55], v[54:55], v[56:57]
	v_fma_f64 v[56:57], -v[50:51], v[54:55], 1.0
	v_fmac_f64_e32 v[54:55], v[54:55], v[56:57]
	v_mul_f64 v[56:57], v[52:53], v[54:55]
	v_fma_f64 v[50:51], -v[50:51], v[56:57], v[52:53]
	v_div_fmas_f64 v[50:51], v[50:51], v[54:55], v[56:57]
	v_div_fixup_f64 v[48:49], v[50:51], v[48:49], 1.0
	v_mul_f64 v[48:49], s[48:49], v[48:49]
	v_frexp_mant_f64_e64 v[50:51], |v[48:49]|
	v_cmp_gt_f64_e32 vcc, s[16:17], v[50:51]
	v_cndmask_b32_e64 v13, v66, 2.0, vcc
	v_mul_f64 v[50:51], v[50:51], v[12:13]
	v_add_f64 v[52:53], v[50:51], 1.0
	v_rcp_f64_e32 v[56:57], v[52:53]
	v_add_f64 v[58:59], v[52:53], -1.0
	v_add_f64 v[54:55], v[50:51], -1.0
	v_add_f64 v[50:51], v[50:51], -v[58:59]
	v_fma_f64 v[58:59], -v[52:53], v[56:57], 1.0
	v_fmac_f64_e32 v[56:57], v[58:59], v[56:57]
	v_fma_f64 v[58:59], -v[52:53], v[56:57], 1.0
	v_fmac_f64_e32 v[56:57], v[58:59], v[56:57]
	v_mul_f64 v[58:59], v[54:55], v[56:57]
	v_mul_f64 v[60:61], v[52:53], v[58:59]
	v_fma_f64 v[52:53], v[58:59], v[52:53], -v[60:61]
	v_fmac_f64_e32 v[52:53], v[58:59], v[50:51]
	v_add_f64 v[50:51], v[60:61], v[52:53]
	v_add_f64 v[62:63], v[54:55], -v[50:51]
	v_add_f64 v[60:61], v[50:51], -v[60:61]
	;; [unrolled: 1-line block ×5, first 2 shown]
	v_add_f64 v[50:51], v[52:53], v[50:51]
	v_add_f64 v[50:51], v[62:63], v[50:51]
	v_mul_f64 v[50:51], v[56:57], v[50:51]
	v_add_f64 v[52:53], v[58:59], v[50:51]
	v_add_f64 v[54:55], v[52:53], -v[58:59]
	v_mul_f64 v[56:57], v[52:53], v[52:53]
	v_add_f64 v[50:51], v[50:51], -v[54:55]
	v_fma_f64 v[54:55], v[52:53], v[52:53], -v[56:57]
	v_add_f64 v[58:59], v[50:51], v[50:51]
	v_fmac_f64_e32 v[54:55], v[52:53], v[58:59]
	v_add_f64 v[58:59], v[56:57], v[54:55]
	v_fma_f64 v[60:61], s[18:19], v[58:59], v[14:15]
	v_fma_f64 v[60:61], v[58:59], v[60:61], v[16:17]
	;; [unrolled: 1-line block ×7, first 2 shown]
	v_add_f64 v[56:57], v[58:59], -v[56:57]
	v_mul_f64 v[62:63], v[52:53], v[58:59]
	v_fma_f64 v[60:61], v[58:59], v[60:61], v[28:29]
	v_add_f64 v[56:57], v[54:55], -v[56:57]
	v_fma_f64 v[54:55], v[58:59], v[52:53], -v[62:63]
	v_mul_f64 v[68:69], v[58:59], v[60:61]
	v_fmac_f64_e32 v[54:55], v[58:59], v[50:51]
	v_fma_f64 v[58:59], v[58:59], v[60:61], -v[68:69]
	v_fmac_f64_e32 v[58:59], v[56:57], v[60:61]
	v_fmac_f64_e32 v[54:55], v[56:57], v[52:53]
	v_add_f64 v[56:57], v[68:69], v[58:59]
	v_add_f64 v[60:61], v[56:57], -v[68:69]
	v_add_f64 v[68:69], v[56:57], s[16:17]
	v_add_f64 v[58:59], v[58:59], -v[60:61]
	v_add_f64 v[60:61], v[68:69], s[24:25]
	v_add_f64 v[56:57], v[56:57], -v[60:61]
	v_add_f64 v[58:59], v[58:59], s[26:27]
	v_add_f64 v[56:57], v[58:59], v[56:57]
	v_add_f64 v[60:61], v[68:69], v[56:57]
	v_add_f64 v[70:71], v[62:63], v[54:55]
	v_add_f64 v[58:59], v[68:69], -v[60:61]
	v_add_f64 v[68:69], v[56:57], v[58:59]
	v_mul_f64 v[56:57], v[70:71], v[60:61]
	v_frexp_exp_i32_f64_e32 v13, v[48:49]
	v_fma_f64 v[58:59], v[70:71], v[60:61], -v[56:57]
	v_add_f64 v[62:63], v[70:71], -v[62:63]
	v_subbrev_co_u32_e32 v13, vcc, 0, v13, vcc
	v_fmac_f64_e32 v[58:59], v[70:71], v[68:69]
	v_add_f64 v[54:55], v[54:55], -v[62:63]
	v_cvt_f64_i32_e32 v[62:63], v13
	v_fmac_f64_e32 v[58:59], v[54:55], v[60:61]
	v_mul_f64 v[54:55], v[62:63], s[20:21]
	v_fma_f64 v[60:61], v[62:63], s[20:21], -v[54:55]
	v_fmac_f64_e32 v[60:61], s[22:23], v[62:63]
	v_add_f64 v[62:63], v[54:55], v[60:61]
	v_add_f64 v[54:55], v[62:63], -v[54:55]
	v_add_f64 v[54:55], v[60:61], -v[54:55]
	v_add_f64 v[60:61], v[56:57], v[58:59]
	v_ldexp_f64 v[52:53], v[52:53], 1
	v_add_f64 v[56:57], v[60:61], -v[56:57]
	v_add_f64 v[56:57], v[58:59], -v[56:57]
	v_add_f64 v[58:59], v[52:53], v[60:61]
	v_add_f64 v[52:53], v[58:59], -v[52:53]
	v_ldexp_f64 v[50:51], v[50:51], 1
	v_add_f64 v[52:53], v[60:61], -v[52:53]
	v_add_f64 v[50:51], v[50:51], v[56:57]
	v_add_f64 v[50:51], v[50:51], v[52:53]
	;; [unrolled: 1-line block ×3, first 2 shown]
	v_add_f64 v[56:57], v[52:53], -v[58:59]
	v_add_f64 v[58:59], v[62:63], v[52:53]
	v_add_f64 v[50:51], v[50:51], -v[56:57]
	v_add_f64 v[56:57], v[58:59], -v[62:63]
	;; [unrolled: 1-line block ×5, first 2 shown]
	v_add_f64 v[62:63], v[54:55], v[50:51]
	v_add_f64 v[52:53], v[52:53], v[56:57]
	v_add_f64 v[56:57], v[62:63], -v[54:55]
	v_add_f64 v[50:51], v[50:51], -v[56:57]
	;; [unrolled: 1-line block ×4, first 2 shown]
	v_add_f64 v[52:53], v[62:63], v[52:53]
	v_add_f64 v[50:51], v[50:51], v[54:55]
	;; [unrolled: 1-line block ×3, first 2 shown]
	v_add_f64 v[58:59], v[54:55], -v[58:59]
	v_add_f64 v[52:53], v[52:53], -v[58:59]
	v_add_f64 v[50:51], v[50:51], v[52:53]
	v_add_f64 v[52:53], v[54:55], v[50:51]
	v_add_f64 v[54:55], v[52:53], -v[54:55]
	v_mul_f64 v[58:59], v[52:53], s[28:29]
	v_add_f64 v[50:51], v[50:51], -v[54:55]
	v_fma_f64 v[52:53], v[52:53], s[28:29], -v[58:59]
	v_fmac_f64_e32 v[52:53], 0x40180000, v[50:51]
	v_add_f64 v[50:51], v[58:59], v[52:53]
	v_cmp_class_f64_e64 vcc, v[58:59], s47
	v_cndmask_b32_e32 v55, v51, v59, vcc
	v_cndmask_b32_e32 v54, v50, v58, vcc
	v_add_f64 v[50:51], v[50:51], -v[58:59]
	v_add_f64 v[50:51], v[52:53], -v[50:51]
	v_mul_f64 v[52:53], v[54:55], s[34:35]
	v_rndne_f64_e32 v[52:53], v[52:53]
	v_fma_f64 v[58:59], s[36:37], v[52:53], v[54:55]
	v_fmac_f64_e32 v[58:59], s[38:39], v[52:53]
	v_fma_f64 v[62:63], s[40:41], v[58:59], v[30:31]
	v_pk_mov_b32 v[68:69], v[34:35], v[34:35] op_sel:[0,1]
	v_fma_f64 v[62:63], v[58:59], v[62:63], v[32:33]
	v_pk_mov_b32 v[60:61], v[36:37], v[36:37] op_sel:[0,1]
	v_fmac_f64_e32 v[68:69], v[58:59], v[62:63]
	v_pk_mov_b32 v[56:57], v[38:39], v[38:39] op_sel:[0,1]
	v_fmac_f64_e32 v[60:61], v[58:59], v[68:69]
	;; [unrolled: 2-line block ×6, first 2 shown]
	v_fmac_f64_e32 v[56:57], v[58:59], v[60:61]
	v_cvt_i32_f64_e32 v13, v[52:53]
	v_fma_f64 v[52:53], v[58:59], v[56:57], 1.0
	v_cmp_neq_f64_e64 vcc, |v[54:55]|, s[30:31]
	v_fma_f64 v[52:53], v[58:59], v[52:53], 1.0
	v_cndmask_b32_e32 v51, 0, v51, vcc
	v_cndmask_b32_e32 v50, 0, v50, vcc
	v_ldexp_f64 v[52:53], v[52:53], v13
	v_cmp_lt_f64_e32 vcc, s[42:43], v[54:55]
	v_cndmask_b32_e32 v13, v53, v67, vcc
	v_and_b32_e32 v53, 0x7fffffff, v53
	v_cndmask_b32_e64 v56, v52, 0, vcc
	v_cmp_ngt_f64_e64 s[0:1], s[44:45], v[54:55]
	v_cmp_eq_f64_e64 s[2:3], s[30:31], v[52:53]
	v_cndmask_b32_e64 v53, 0, v13, s[0:1]
	v_cndmask_b32_e64 v52, 0, v56, s[0:1]
	v_pk_mov_b32 v[54:55], v[52:53], v[52:53] op_sel:[0,1]
	s_or_b64 s[2:3], vcc, s[2:3]
	v_fmac_f64_e32 v[54:55], v[54:55], v[50:51]
	s_and_b64 vcc, s[0:1], s[2:3]
	v_cndmask_b32_e32 v13, v55, v53, vcc
	v_cndmask_b32_e32 v50, v54, v52, vcc
	v_and_b32_e32 v13, 0x7fffffff, v13
	v_cmp_neq_f64_e64 vcc, |v[48:49]|, s[30:31]
	v_cmp_neq_f64_e64 s[0:1], 0, v[48:49]
	v_cndmask_b32_e32 v13, v67, v13, vcc
	s_and_b64 vcc, s[0:1], vcc
	v_cndmask_b32_e64 v49, 0, v13, s[0:1]
	v_cndmask_b32_e32 v48, 0, v50, vcc
	s_add_u32 s12, s12, 40
	v_mul_f64 v[62:63], s[6:7], 4.0
	v_fma_f64 v[48:49], v[48:49], v[48:49], -v[48:49]
	s_addc_u32 s13, s13, 0
	s_cmp_lt_i32 s46, s33
	v_fmac_f64_e32 v[4:5], v[62:63], v[48:49]
	s_cbranch_scc1 .LBB0_2
	s_branch .LBB0_4
.LBB0_3:
	v_pk_mov_b32 v[4:5], 0, 0
.LBB0_4:
	s_mov_b32 s0, 0xdd2f1aa0
	s_mov_b32 s1, 0xc0a35b24
	v_div_scale_f64 v[2:3], s[2:3], s[0:1], s[0:1], v[4:5]
	v_rcp_f64_e32 v[6:7], v[2:3]
	v_lshlrev_b64 v[0:1], 3, v[0:1]
	v_fma_f64 v[8:9], -v[2:3], v[6:7], 1.0
	v_fmac_f64_e32 v[6:7], v[6:7], v[8:9]
	v_fma_f64 v[8:9], -v[2:3], v[6:7], 1.0
	v_fmac_f64_e32 v[6:7], v[6:7], v[8:9]
	v_div_scale_f64 v[8:9], vcc, v[4:5], s[0:1], v[4:5]
	v_mul_f64 v[10:11], v[8:9], v[6:7]
	v_fma_f64 v[2:3], -v[2:3], v[10:11], v[8:9]
	v_mov_b32_e32 v8, 0xfca7ab0c
	s_nop 0
	v_div_fmas_f64 v[2:3], v[2:3], v[6:7], v[10:11]
	v_div_fixup_f64 v[2:3], v[2:3], s[0:1], v[4:5]
	s_mov_b32 s0, 0x652b82fe
	s_mov_b32 s1, 0x3ff71547
	v_mul_f64 v[4:5], v[2:3], s[0:1]
	s_mov_b32 s0, 0xfefa39ef
	v_rndne_f64_e32 v[4:5], v[4:5]
	s_mov_b32 s1, 0xbfe62e42
	v_fma_f64 v[6:7], s[0:1], v[4:5], v[2:3]
	s_mov_b32 s0, 0x3b39803f
	s_mov_b32 s1, 0xbc7abc9e
	v_fmac_f64_e32 v[6:7], s[0:1], v[4:5]
	s_mov_b32 s0, 0x6a5dcb37
	v_mov_b32_e32 v9, 0x3e928af3
	s_mov_b32 s1, 0x3e5ade15
	v_fmac_f64_e32 v[8:9], s[0:1], v[6:7]
	v_mov_b32_e32 v10, 0x623fde64
	v_mov_b32_e32 v11, 0x3ec71dee
	v_fmac_f64_e32 v[10:11], v[6:7], v[8:9]
	v_mov_b32_e32 v8, 0x7c89e6b0
	v_mov_b32_e32 v9, 0x3efa0199
	;; [unrolled: 3-line block ×8, first 2 shown]
	s_mov_b32 s0, 0
	v_fmac_f64_e32 v[8:9], v[6:7], v[10:11]
	s_mov_b32 s1, 0x40900000
	v_fma_f64 v[8:9], v[6:7], v[8:9], 1.0
	v_cmp_nlt_f64_e32 vcc, s[0:1], v[2:3]
	s_mov_b32 s0, 0
	v_fma_f64 v[6:7], v[6:7], v[8:9], 1.0
	v_cvt_i32_f64_e32 v4, v[4:5]
	s_mov_b32 s1, 0xc090cc00
	v_ldexp_f64 v[4:5], v[6:7], v4
	v_mov_b32_e32 v6, 0x7ff00000
	v_cmp_ngt_f64_e64 s[0:1], s[0:1], v[2:3]
	v_cndmask_b32_e32 v5, v6, v5, vcc
	s_and_b64 vcc, s[0:1], vcc
	v_cndmask_b32_e32 v2, 0, v4, vcc
	v_mov_b32_e32 v4, s9
	v_add_co_u32_e32 v0, vcc, s8, v0
	v_cndmask_b32_e64 v3, 0, v5, s[0:1]
	v_addc_co_u32_e32 v1, vcc, v4, v1, vcc
	global_store_dwordx2 v[0:1], v[2:3], off
	s_endpgm
	.section	.rodata,"a",@progbits
	.p2align	6, 0x0
	.amdhsa_kernel _Z10insertionsPdPK13StructureAtomid
		.amdhsa_group_segment_fixed_size 0
		.amdhsa_private_segment_fixed_size 0
		.amdhsa_kernarg_size 32
		.amdhsa_user_sgpr_count 6
		.amdhsa_user_sgpr_private_segment_buffer 1
		.amdhsa_user_sgpr_dispatch_ptr 0
		.amdhsa_user_sgpr_queue_ptr 0
		.amdhsa_user_sgpr_kernarg_segment_ptr 1
		.amdhsa_user_sgpr_dispatch_id 0
		.amdhsa_user_sgpr_flat_scratch_init 0
		.amdhsa_user_sgpr_kernarg_preload_length 0
		.amdhsa_user_sgpr_kernarg_preload_offset 0
		.amdhsa_user_sgpr_private_segment_size 0
		.amdhsa_uses_dynamic_stack 0
		.amdhsa_system_sgpr_private_segment_wavefront_offset 0
		.amdhsa_system_sgpr_workgroup_id_x 1
		.amdhsa_system_sgpr_workgroup_id_y 0
		.amdhsa_system_sgpr_workgroup_id_z 0
		.amdhsa_system_sgpr_workgroup_info 0
		.amdhsa_system_vgpr_workitem_id 0
		.amdhsa_next_free_vgpr 72
		.amdhsa_next_free_sgpr 50
		.amdhsa_accum_offset 72
		.amdhsa_reserve_vcc 1
		.amdhsa_reserve_flat_scratch 0
		.amdhsa_float_round_mode_32 0
		.amdhsa_float_round_mode_16_64 0
		.amdhsa_float_denorm_mode_32 3
		.amdhsa_float_denorm_mode_16_64 3
		.amdhsa_dx10_clamp 1
		.amdhsa_ieee_mode 1
		.amdhsa_fp16_overflow 0
		.amdhsa_tg_split 0
		.amdhsa_exception_fp_ieee_invalid_op 0
		.amdhsa_exception_fp_denorm_src 0
		.amdhsa_exception_fp_ieee_div_zero 0
		.amdhsa_exception_fp_ieee_overflow 0
		.amdhsa_exception_fp_ieee_underflow 0
		.amdhsa_exception_fp_ieee_inexact 0
		.amdhsa_exception_int_div_zero 0
	.end_amdhsa_kernel
	.text
.Lfunc_end0:
	.size	_Z10insertionsPdPK13StructureAtomid, .Lfunc_end0-_Z10insertionsPdPK13StructureAtomid
                                        ; -- End function
	.section	.AMDGPU.csdata,"",@progbits
; Kernel info:
; codeLenInByte = 3048
; NumSgprs: 54
; NumVgprs: 72
; NumAgprs: 0
; TotalNumVgprs: 72
; ScratchSize: 0
; MemoryBound: 0
; FloatMode: 240
; IeeeMode: 1
; LDSByteSize: 0 bytes/workgroup (compile time only)
; SGPRBlocks: 6
; VGPRBlocks: 8
; NumSGPRsForWavesPerEU: 54
; NumVGPRsForWavesPerEU: 72
; AccumOffset: 72
; Occupancy: 7
; WaveLimiterHint : 0
; COMPUTE_PGM_RSRC2:SCRATCH_EN: 0
; COMPUTE_PGM_RSRC2:USER_SGPR: 6
; COMPUTE_PGM_RSRC2:TRAP_HANDLER: 0
; COMPUTE_PGM_RSRC2:TGID_X_EN: 1
; COMPUTE_PGM_RSRC2:TGID_Y_EN: 0
; COMPUTE_PGM_RSRC2:TGID_Z_EN: 0
; COMPUTE_PGM_RSRC2:TIDIG_COMP_CNT: 0
; COMPUTE_PGM_RSRC3_GFX90A:ACCUM_OFFSET: 17
; COMPUTE_PGM_RSRC3_GFX90A:TG_SPLIT: 0
	.text
	.p2alignl 6, 3212836864
	.fill 256, 4, 3212836864
	.type	__hip_cuid_dba3ba6cb6d6fdf3,@object ; @__hip_cuid_dba3ba6cb6d6fdf3
	.section	.bss,"aw",@nobits
	.globl	__hip_cuid_dba3ba6cb6d6fdf3
__hip_cuid_dba3ba6cb6d6fdf3:
	.byte	0                               ; 0x0
	.size	__hip_cuid_dba3ba6cb6d6fdf3, 1

	.ident	"AMD clang version 19.0.0git (https://github.com/RadeonOpenCompute/llvm-project roc-6.4.0 25133 c7fe45cf4b819c5991fe208aaa96edf142730f1d)"
	.section	".note.GNU-stack","",@progbits
	.addrsig
	.addrsig_sym __hip_cuid_dba3ba6cb6d6fdf3
	.amdgpu_metadata
---
amdhsa.kernels:
  - .agpr_count:     0
    .args:
      - .actual_access:  write_only
        .address_space:  global
        .offset:         0
        .size:           8
        .value_kind:     global_buffer
      - .actual_access:  read_only
        .address_space:  global
        .offset:         8
        .size:           8
        .value_kind:     global_buffer
      - .offset:         16
        .size:           4
        .value_kind:     by_value
      - .offset:         24
        .size:           8
        .value_kind:     by_value
    .group_segment_fixed_size: 0
    .kernarg_segment_align: 8
    .kernarg_segment_size: 32
    .language:       OpenCL C
    .language_version:
      - 2
      - 0
    .max_flat_workgroup_size: 1024
    .name:           _Z10insertionsPdPK13StructureAtomid
    .private_segment_fixed_size: 0
    .sgpr_count:     54
    .sgpr_spill_count: 0
    .symbol:         _Z10insertionsPdPK13StructureAtomid.kd
    .uniform_work_group_size: 1
    .uses_dynamic_stack: false
    .vgpr_count:     72
    .vgpr_spill_count: 0
    .wavefront_size: 64
amdhsa.target:   amdgcn-amd-amdhsa--gfx90a
amdhsa.version:
  - 1
  - 2
...

	.end_amdgpu_metadata
